;; amdgpu-corpus repo=ROCm/aiter kind=compiled arch=gfx1100 opt=O3
	.text
	.amdgcn_target "amdgcn-amd-amdhsa--gfx1100"
	.amdhsa_code_object_version 6
	.section	.text._Z17vector_add_kernelILi256ELi4EEvPKfS1_Pfi,"axG",@progbits,_Z17vector_add_kernelILi256ELi4EEvPKfS1_Pfi,comdat
	.protected	_Z17vector_add_kernelILi256ELi4EEvPKfS1_Pfi ; -- Begin function _Z17vector_add_kernelILi256ELi4EEvPKfS1_Pfi
	.globl	_Z17vector_add_kernelILi256ELi4EEvPKfS1_Pfi
	.p2align	8
	.type	_Z17vector_add_kernelILi256ELi4EEvPKfS1_Pfi,@function
_Z17vector_add_kernelILi256ELi4EEvPKfS1_Pfi: ; @_Z17vector_add_kernelILi256ELi4EEvPKfS1_Pfi
; %bb.0:
	s_load_b32 s12, s[2:3], 0x18
	v_lshlrev_b32_e32 v1, 2, v0
	s_mov_b32 s4, exec_lo
	s_delay_alu instid0(VALU_DEP_1) | instskip(SKIP_1) | instid1(VALU_DEP_1)
	v_lshl_add_u32 v1, s15, 10, v1
	s_waitcnt lgkmcnt(0)
	v_cmpx_gt_i32_e64 s12, v1
	s_cbranch_execz .LBB0_3
; %bb.1:
	s_clause 0x1
	s_load_b128 s[8:11], s[2:3], 0x0
	s_load_b64 s[4:5], s[2:3], 0x10
	s_load_b32 s0, s[0:1], 0xc
	v_lshlrev_b32_e32 v0, 4, v0
	s_mov_b32 s2, -1
	s_mov_b32 s13, 0
	s_mov_b32 s3, s2
	;; [unrolled: 1-line block ×3, first 2 shown]
	v_lshl_add_u32 v0, s15, 12, v0
	s_mov_b32 s6, s2
	s_mov_b32 s19, s2
	;; [unrolled: 1-line block ×3, first 2 shown]
	s_waitcnt lgkmcnt(0)
	s_and_b32 s9, s9, 0xffff
	s_and_b32 s17, s11, 0xffff
	;; [unrolled: 1-line block ×3, first 2 shown]
	s_lshl_b32 s14, s0, 2
	s_lshl_b32 s15, s0, 4
	s_mov_b32 s0, s8
	s_mov_b32 s16, s10
	;; [unrolled: 1-line block ×3, first 2 shown]
.LBB0_2:                                ; =>This Inner Loop Header: Depth=1
	buffer_load_b128 v[2:5], v0, s[0:3], 0 offen
	buffer_load_b128 v[6:9], v0, s[16:19], 0 offen
	s_waitcnt vmcnt(0)
	v_dual_add_f32 v2, v2, v6 :: v_dual_add_nc_u32 v1, s14, v1
	v_dual_add_f32 v3, v3, v7 :: v_dual_add_f32 v4, v4, v8
	v_add_f32_e32 v5, v5, v9
	s_delay_alu instid0(VALU_DEP_3) | instskip(SKIP_3) | instid1(SALU_CYCLE_1)
	v_cmp_le_i32_e32 vcc_lo, s12, v1
	buffer_store_b128 v[2:5], v0, s[4:7], 0 offen
	v_add_nc_u32_e32 v0, s15, v0
	s_or_b32 s13, vcc_lo, s13
	s_and_not1_b32 exec_lo, exec_lo, s13
	s_cbranch_execnz .LBB0_2
.LBB0_3:
	s_nop 0
	s_sendmsg sendmsg(MSG_DEALLOC_VGPRS)
	s_endpgm
	.section	.rodata,"a",@progbits
	.p2align	6, 0x0
	.amdhsa_kernel _Z17vector_add_kernelILi256ELi4EEvPKfS1_Pfi
		.amdhsa_group_segment_fixed_size 0
		.amdhsa_private_segment_fixed_size 0
		.amdhsa_kernarg_size 28
		.amdhsa_user_sgpr_count 15
		.amdhsa_user_sgpr_dispatch_ptr 1
		.amdhsa_user_sgpr_queue_ptr 0
		.amdhsa_user_sgpr_kernarg_segment_ptr 1
		.amdhsa_user_sgpr_dispatch_id 0
		.amdhsa_user_sgpr_private_segment_size 0
		.amdhsa_wavefront_size32 1
		.amdhsa_uses_dynamic_stack 0
		.amdhsa_enable_private_segment 0
		.amdhsa_system_sgpr_workgroup_id_x 1
		.amdhsa_system_sgpr_workgroup_id_y 0
		.amdhsa_system_sgpr_workgroup_id_z 0
		.amdhsa_system_sgpr_workgroup_info 0
		.amdhsa_system_vgpr_workitem_id 0
		.amdhsa_next_free_vgpr 10
		.amdhsa_next_free_sgpr 20
		.amdhsa_reserve_vcc 1
		.amdhsa_float_round_mode_32 0
		.amdhsa_float_round_mode_16_64 0
		.amdhsa_float_denorm_mode_32 3
		.amdhsa_float_denorm_mode_16_64 3
		.amdhsa_dx10_clamp 1
		.amdhsa_ieee_mode 1
		.amdhsa_fp16_overflow 0
		.amdhsa_workgroup_processor_mode 1
		.amdhsa_memory_ordered 1
		.amdhsa_forward_progress 0
		.amdhsa_shared_vgpr_count 0
		.amdhsa_exception_fp_ieee_invalid_op 0
		.amdhsa_exception_fp_denorm_src 0
		.amdhsa_exception_fp_ieee_div_zero 0
		.amdhsa_exception_fp_ieee_overflow 0
		.amdhsa_exception_fp_ieee_underflow 0
		.amdhsa_exception_fp_ieee_inexact 0
		.amdhsa_exception_int_div_zero 0
	.end_amdhsa_kernel
	.section	.text._Z17vector_add_kernelILi256ELi4EEvPKfS1_Pfi,"axG",@progbits,_Z17vector_add_kernelILi256ELi4EEvPKfS1_Pfi,comdat
.Lfunc_end0:
	.size	_Z17vector_add_kernelILi256ELi4EEvPKfS1_Pfi, .Lfunc_end0-_Z17vector_add_kernelILi256ELi4EEvPKfS1_Pfi
                                        ; -- End function
	.section	.AMDGPU.csdata,"",@progbits
; Kernel info:
; codeLenInByte = 244
; NumSgprs: 22
; NumVgprs: 10
; ScratchSize: 0
; MemoryBound: 0
; FloatMode: 240
; IeeeMode: 1
; LDSByteSize: 0 bytes/workgroup (compile time only)
; SGPRBlocks: 2
; VGPRBlocks: 1
; NumSGPRsForWavesPerEU: 22
; NumVGPRsForWavesPerEU: 10
; Occupancy: 16
; WaveLimiterHint : 0
; COMPUTE_PGM_RSRC2:SCRATCH_EN: 0
; COMPUTE_PGM_RSRC2:USER_SGPR: 15
; COMPUTE_PGM_RSRC2:TRAP_HANDLER: 0
; COMPUTE_PGM_RSRC2:TGID_X_EN: 1
; COMPUTE_PGM_RSRC2:TGID_Y_EN: 0
; COMPUTE_PGM_RSRC2:TGID_Z_EN: 0
; COMPUTE_PGM_RSRC2:TIDIG_COMP_CNT: 0
	.text
	.p2alignl 7, 3214868480
	.fill 96, 4, 3214868480
	.type	__hip_cuid_183eea4432e61f9d,@object ; @__hip_cuid_183eea4432e61f9d
	.section	.bss,"aw",@nobits
	.globl	__hip_cuid_183eea4432e61f9d
__hip_cuid_183eea4432e61f9d:
	.byte	0                               ; 0x0
	.size	__hip_cuid_183eea4432e61f9d, 1

	.ident	"AMD clang version 19.0.0git (https://github.com/RadeonOpenCompute/llvm-project roc-6.4.0 25133 c7fe45cf4b819c5991fe208aaa96edf142730f1d)"
	.section	".note.GNU-stack","",@progbits
	.addrsig
	.addrsig_sym __hip_cuid_183eea4432e61f9d
	.amdgpu_metadata
---
amdhsa.kernels:
  - .args:
      - .address_space:  global
        .offset:         0
        .size:           8
        .value_kind:     global_buffer
      - .address_space:  global
        .offset:         8
        .size:           8
        .value_kind:     global_buffer
      - .address_space:  global
        .offset:         16
        .size:           8
        .value_kind:     global_buffer
      - .offset:         24
        .size:           4
        .value_kind:     by_value
    .group_segment_fixed_size: 0
    .kernarg_segment_align: 8
    .kernarg_segment_size: 28
    .language:       OpenCL C
    .language_version:
      - 2
      - 0
    .max_flat_workgroup_size: 1024
    .name:           _Z17vector_add_kernelILi256ELi4EEvPKfS1_Pfi
    .private_segment_fixed_size: 0
    .sgpr_count:     22
    .sgpr_spill_count: 0
    .symbol:         _Z17vector_add_kernelILi256ELi4EEvPKfS1_Pfi.kd
    .uniform_work_group_size: 1
    .uses_dynamic_stack: false
    .vgpr_count:     10
    .vgpr_spill_count: 0
    .wavefront_size: 32
    .workgroup_processor_mode: 1
amdhsa.target:   amdgcn-amd-amdhsa--gfx1100
amdhsa.version:
  - 1
  - 2
...

	.end_amdgpu_metadata
